;; amdgpu-corpus repo=ROCm/rocFFT kind=compiled arch=gfx1030 opt=O3
	.text
	.amdgcn_target "amdgcn-amd-amdhsa--gfx1030"
	.amdhsa_code_object_version 6
	.protected	fft_rtc_fwd_len1331_factors_11_11_11_wgs_121_tpt_121_dp_op_CI_CI_sbrc_erc_z_xy_unaligned ; -- Begin function fft_rtc_fwd_len1331_factors_11_11_11_wgs_121_tpt_121_dp_op_CI_CI_sbrc_erc_z_xy_unaligned
	.globl	fft_rtc_fwd_len1331_factors_11_11_11_wgs_121_tpt_121_dp_op_CI_CI_sbrc_erc_z_xy_unaligned
	.p2align	8
	.type	fft_rtc_fwd_len1331_factors_11_11_11_wgs_121_tpt_121_dp_op_CI_CI_sbrc_erc_z_xy_unaligned,@function
fft_rtc_fwd_len1331_factors_11_11_11_wgs_121_tpt_121_dp_op_CI_CI_sbrc_erc_z_xy_unaligned: ; @fft_rtc_fwd_len1331_factors_11_11_11_wgs_121_tpt_121_dp_op_CI_CI_sbrc_erc_z_xy_unaligned
; %bb.0:
	s_load_dwordx8 s[8:15], s[4:5], 0x0
	v_cmp_gt_u32_e32 vcc_lo, 0x3c8, v0
	v_mov_b32_e32 v3, 0x25d
	v_mov_b32_e32 v4, 0x2d6
	v_add_nc_u32_e32 v20, 0x79, v0
	v_mov_b32_e32 v5, 0x34f
	v_add_nc_u32_e32 v21, 0xf2, v0
	v_mov_b32_e32 v45, 0
	v_mov_b32_e32 v32, 0x3c8
	v_mul_u32_u24_e32 v54, 0x21e, v0
	s_mov_b32 s34, 0xfd768dbf
	s_mov_b32 s35, 0xbfd207e7
	;; [unrolled: 1-line block ×4, first 2 shown]
	v_lshrrev_b32_e32 v55, 16, v54
	v_lshl_add_u32 v54, v0, 4, 0
	s_mov_b32 s38, 0x640f44db
	s_mov_b32 s42, 0x7f775887
	;; [unrolled: 1-line block ×3, first 2 shown]
	v_mul_lo_u16 v55, 0x79, v55
	s_waitcnt lgkmcnt(0)
	s_load_dwordx4 s[0:3], s[12:13], 0x8
	s_load_dwordx4 s[24:27], s[14:15], 0x0
	s_mov_b32 s41, 0x3feaeb8c
	s_mov_b32 s37, 0x3fda9628
	;; [unrolled: 1-line block ×6, first 2 shown]
	v_mov_b32_e32 v250, 4
	s_waitcnt lgkmcnt(0)
	s_mul_i32 s1, s2, s0
	v_cvt_f32_u32_e32 v2, s0
	v_cvt_f32_u32_e32 v1, s1
	s_sub_i32 s3, 0, s1
	v_rcp_iflag_f32_e32 v2, v2
	v_rcp_iflag_f32_e32 v1, v1
	v_mul_f32_e32 v1, 0x4f7ffffe, v1
	v_cvt_u32_f32_e32 v1, v1
	v_readfirstlane_b32 s2, v1
	v_mul_f32_e32 v1, 0x4f7ffffe, v2
	v_mov_b32_e32 v2, 0x1e4
	s_mul_i32 s3, s3, s2
	v_cvt_u32_f32_e32 v1, v1
	s_mul_hi_u32 s3, s2, s3
	s_add_i32 s2, s2, s3
	v_readfirstlane_b32 s13, v1
	s_mul_hi_u32 s2, s6, s2
	v_mov_b32_e32 v1, 0x16b
	s_mul_i32 s3, s2, s1
	s_add_i32 s7, s2, 1
	s_sub_i32 s3, s6, s3
	s_sub_i32 s12, s3, s1
	s_cmp_ge_u32 s3, s1
	v_cndmask_b32_e32 v46, 0xfffffc38, v1, vcc_lo
	s_cselect_b32 s7, s7, s2
	s_cselect_b32 s12, s12, s3
	s_load_dwordx2 s[2:3], s[4:5], 0x20
	s_add_i32 s16, s7, 1
	s_cmp_ge_u32 s12, s1
	v_cmp_gt_u32_e32 vcc_lo, 0x34f, v0
	s_cselect_b32 s33, s16, s7
	s_load_dwordx4 s[16:19], s[4:5], 0x58
	s_sub_i32 s7, 0, s0
	s_mul_i32 s1, s33, s1
	s_mul_i32 s7, s7, s13
	s_sub_i32 s1, s6, s1
	s_mul_hi_u32 s7, s13, s7
	v_cndmask_b32_e32 v47, 0xfffffcb1, v2, vcc_lo
	s_add_i32 s7, s13, s7
	v_cmp_gt_u32_e32 vcc_lo, 0x2d6, v0
	s_mul_hi_u32 s12, s1, s7
	s_mul_hi_u32 s7, s6, s7
	s_mul_i32 s20, s12, s0
	s_add_i32 s4, s12, 1
	s_sub_i32 s1, s1, s20
	s_mul_i32 s7, s7, s0
	s_sub_i32 s5, s1, s0
	s_waitcnt lgkmcnt(0)
	s_load_dwordx4 s[20:23], s[2:3], 0x0
	s_cmp_ge_u32 s1, s0
	s_load_dwordx2 s[28:29], s[2:3], 0x10
	s_cselect_b32 s4, s4, s12
	s_cselect_b32 s1, s5, s1
	s_add_i32 s5, s4, 1
	s_cmp_ge_u32 s1, s0
	v_cndmask_b32_e32 v48, 0xfffffd2a, v3, vcc_lo
	s_cselect_b32 s12, s5, s4
	s_sub_i32 s1, s6, s7
	v_cmp_gt_u32_e32 vcc_lo, 0x25d, v0
	s_sub_i32 s4, s1, s0
	s_cmp_ge_u32 s1, s0
	v_add_nc_u32_e32 v22, v46, v0
	s_cselect_b32 s1, s4, s1
	v_cndmask_b32_e32 v49, 0xfffffda3, v4, vcc_lo
	s_sub_i32 s4, s1, s0
	s_cmp_ge_u32 s1, s0
	v_cmp_gt_u32_e32 vcc_lo, 0x1e4, v0
	s_waitcnt lgkmcnt(0)
	s_cselect_b32 s23, s4, s1
	s_lshl_b64 s[4:5], s[10:11], 3
	s_mul_i32 s0, s21, s23
	s_mul_hi_u32 s1, s20, s23
	v_add_nc_u32_e32 v23, v47, v0
	s_add_i32 s11, s1, s0
	s_add_u32 s0, s2, s4
	s_addc_u32 s1, s3, s5
	v_cndmask_b32_e32 v50, 0xfffffe1c, v5, vcc_lo
	s_load_dwordx2 s[30:31], s[0:1], 0x0
	s_load_dword s0, s[14:15], 0x10
	v_add_nc_u32_e32 v24, v48, v0
	v_add_nc_u32_e32 v27, v49, v0
	s_mov_b32 s13, 0
	v_cmp_lt_u32_e64 s6, 0x34e, v0
	s_mov_b32 s1, s13
	v_cmp_lt_u32_e32 vcc_lo, 0x2d5, v0
	v_add_nc_u32_e32 v31, v50, v0
	v_lshlrev_b32_e32 v56, 4, v48
	v_sub_nc_u16 v48, v0, v55
	v_lshlrev_b32_e32 v57, 4, v46
	v_lshlrev_b32_e32 v58, 4, v47
	v_lshlrev_b32_e32 v47, 4, v49
	v_lshlrev_b32_e32 v49, 4, v50
	v_and_b32_e32 v46, 0xffff, v48
	v_cndmask_b32_e64 v59, 0, 0x5340, s6
	v_cndmask_b32_e64 v61, 0, 0x5340, vcc_lo
	v_mul_lo_u16 v60, 0xbb, v48
	s_waitcnt lgkmcnt(0)
	s_mul_i32 s2, s31, s33
	s_mul_hi_u32 s3, s30, s33
	s_mul_i32 s0, s12, s0
	s_add_i32 s21, s3, s2
	s_add_u32 s2, s14, s4
	s_addc_u32 s3, s15, s5
	v_cmp_lt_u32_e64 s5, 0x3c7, v0
	s_load_dwordx2 s[2:3], s[2:3], 0x0
	v_mad_u64_u32 v[1:2], null, s24, v0, 0
	v_mad_u64_u32 v[3:4], null, s24, v20, 0
	;; [unrolled: 1-line block ×4, first 2 shown]
	v_cndmask_b32_e64 v44, 0, s26, s5
	v_mad_u64_u32 v[9:10], null, s24, v23, 0
	v_mad_u64_u32 v[11:12], null, s24, v24, 0
	;; [unrolled: 1-line block ×3, first 2 shown]
	v_lshlrev_b64 v[13:14], 4, v[44:45]
	v_mad_u64_u32 v[19:20], null, s25, v20, v[4:5]
	s_mul_i32 s4, s23, s26
	v_mad_u64_u32 v[20:21], null, s25, v21, v[6:7]
	v_mad_u64_u32 v[21:22], null, s25, v22, v[8:9]
	s_add_i32 s0, s4, s0
	v_mad_u64_u32 v[22:23], null, s25, v23, v[10:11]
	s_waitcnt lgkmcnt(0)
	s_mul_i32 s3, s3, s33
	s_mul_hi_u32 s4, s2, s33
	v_mov_b32_e32 v2, v18
	v_mad_u64_u32 v[23:24], null, s25, v24, v[12:13]
	s_mul_i32 s2, s2, s33
	s_add_i32 s3, s4, s3
	v_mov_b32_e32 v4, v19
	s_lshl_b64 s[2:3], s[2:3], 4
	v_lshlrev_b64 v[1:2], 4, v[1:2]
	v_mov_b32_e32 v6, v20
	s_add_u32 s2, s16, s2
	v_mad_u64_u32 v[25:26], null, s24, v27, 0
	s_addc_u32 s3, s17, s3
	s_lshl_b64 s[0:1], s[0:1], 4
	v_lshlrev_b64 v[3:4], 4, v[3:4]
	v_cndmask_b32_e64 v44, 0, s26, s6
	v_mov_b32_e32 v8, v21
	v_mov_b32_e32 v12, v23
	s_add_u32 s7, s2, s0
	v_lshlrev_b64 v[5:6], 4, v[5:6]
	s_addc_u32 s10, s3, s1
	v_add_co_u32 v1, s0, s7, v1
	v_mov_b32_e32 v10, v22
	v_add_co_ci_u32_e64 v2, s0, s10, v2, s0
	v_lshlrev_b64 v[16:17], 4, v[44:45]
	v_lshlrev_b64 v[7:8], 4, v[7:8]
	;; [unrolled: 1-line block ×3, first 2 shown]
	v_add_co_u32 v11, s0, s7, v3
	v_mov_b32_e32 v15, v26
	v_add_co_ci_u32_e64 v12, s0, s10, v4, s0
	v_lshlrev_b64 v[9:10], 4, v[9:10]
	v_add_co_u32 v20, s0, s7, v5
	v_add_co_ci_u32_e64 v21, s0, s10, v6, s0
	v_mad_u64_u32 v[26:27], null, s25, v27, v[15:16]
	v_add_co_u32 v15, s0, s7, v7
	v_add_co_ci_u32_e64 v22, s0, s10, v8, s0
	v_add_co_u32 v9, s0, s7, v9
	v_add_co_ci_u32_e64 v10, s0, s10, v10, s0
	v_cndmask_b32_e64 v44, 0, s26, vcc_lo
	v_add_co_u32 v13, s0, v15, v13
	v_add_co_ci_u32_e64 v14, s0, v22, v14, s0
	v_add_co_u32 v22, s0, v9, v16
	v_lshlrev_b64 v[27:28], 4, v[44:45]
	v_add_co_ci_u32_e64 v23, s0, v10, v17, s0
	v_add_co_u32 v17, s0, s7, v18
	v_add_co_ci_u32_e64 v18, s0, s10, v19, s0
	v_lshlrev_b64 v[25:26], 4, v[25:26]
	v_add_co_u32 v27, s0, v17, v27
	v_add_co_ci_u32_e64 v28, s0, v18, v28, s0
	v_cmp_lt_u32_e64 s0, 0x25c, v0
	v_cmp_gt_u32_e64 s1, 0x16b, v0
	v_mad_u64_u32 v[29:30], null, s24, v31, 0
	s_clause 0x1
	global_load_dwordx4 v[1:4], v[1:2], off
	global_load_dwordx4 v[5:8], v[11:12], off
	v_cndmask_b32_e64 v44, 0, s26, s0
	s_clause 0x3
	global_load_dwordx4 v[9:12], v[20:21], off
	global_load_dwordx4 v[13:16], v[13:14], off
	;; [unrolled: 1-line block ×4, first 2 shown]
	v_cndmask_b32_e64 v51, 0xfffffe95, v32, s1
	v_add_co_u32 v32, s1, s7, v25
	v_lshlrev_b64 v[27:28], 4, v[44:45]
	v_add_co_ci_u32_e64 v33, s1, s10, v26, s1
	v_mad_u64_u32 v[25:26], null, s25, v31, v[30:31]
	v_add_nc_u32_e32 v34, v51, v0
	v_add_co_u32 v26, s1, v32, v27
	v_add_co_ci_u32_e64 v27, s1, v33, v28, s1
	v_mov_b32_e32 v28, 0x441
	v_cmp_gt_u32_e64 s1, 0xf2, v0
	v_mad_u64_u32 v[31:32], null, s24, v34, 0
	v_mov_b32_e32 v30, v25
	v_mov_b32_e32 v33, 0x4ba
	v_cndmask_b32_e64 v52, 0xffffff0e, v28, s1
	v_cmp_gt_u32_e64 s2, 0x79, v0
	v_cmp_lt_u32_e64 s1, 0x1e3, v0
	v_lshlrev_b64 v[28:29], 4, v[29:30]
	v_mov_b32_e32 v25, v32
	v_add_nc_u32_e32 v30, v52, v0
	v_cndmask_b32_e64 v53, 0xffffff87, v33, s2
	v_cndmask_b32_e64 v44, 0, s26, s1
	v_lshlrev_b32_e32 v50, 4, v51
	v_mad_u64_u32 v[32:33], null, s25, v34, v[25:26]
	v_mad_u64_u32 v[33:34], null, s24, v30, 0
	v_add_nc_u32_e32 v39, v53, v0
	v_add_co_u32 v40, s2, s7, v28
	v_add_co_ci_u32_e64 v41, s2, s10, v29, s2
	v_mad_u64_u32 v[28:29], null, s24, v39, 0
	v_mov_b32_e32 v25, v34
	v_cmp_lt_u32_e64 s2, 0x16a, v0
	v_lshlrev_b64 v[35:36], 4, v[44:45]
	v_lshlrev_b32_e32 v51, 4, v52
	v_lshlrev_b32_e32 v52, 4, v53
	v_mad_u64_u32 v[37:38], null, s25, v30, v[25:26]
	v_cndmask_b32_e64 v44, 0, s26, s2
	v_mov_b32_e32 v25, v29
	v_lshlrev_b64 v[29:30], 4, v[31:32]
	v_add_co_u32 v35, s3, v40, v35
	v_add_co_ci_u32_e64 v36, s3, v41, v36, s3
	v_mad_u64_u32 v[31:32], null, s25, v39, v[25:26]
	v_lshlrev_b64 v[38:39], 4, v[44:45]
	v_mov_b32_e32 v34, v37
	v_add_co_u32 v25, s3, s7, v29
	v_add_co_ci_u32_e64 v30, s3, s10, v30, s3
	v_lshlrev_b64 v[32:33], 4, v[33:34]
	v_add_co_u32 v37, s3, v25, v38
	v_add_co_ci_u32_e64 v38, s3, v30, v39, s3
	v_cmp_lt_u32_e64 s3, 0xf1, v0
	v_mov_b32_e32 v29, v31
	v_add_co_u32 v25, s4, s7, v32
	v_add_co_ci_u32_e64 v32, s4, s10, v33, s4
	v_cndmask_b32_e64 v44, 0, s26, s3
	v_cmp_lt_u32_e64 s4, 0x78, v0
	v_lshlrev_b64 v[28:29], 4, v[28:29]
	v_cndmask_b32_e64 v53, 0, 0x5340, s5
	v_lshl_add_u32 v55, v46, 4, 0
	v_lshlrev_b64 v[30:31], 4, v[44:45]
	v_cndmask_b32_e64 v44, 0, s26, s4
	v_add3_u32 v56, v54, v56, v61
	v_add_co_u32 v33, s7, s7, v28
	v_add_co_ci_u32_e64 v34, s7, s10, v29, s7
	v_lshlrev_b64 v[28:29], 4, v[44:45]
	v_add_co_u32 v39, s7, v25, v30
	v_add_co_ci_u32_e64 v40, s7, v32, v31, s7
	v_add3_u32 v53, v54, v57, v53
	v_add_co_u32 v41, s7, v33, v28
	v_add_co_ci_u32_e64 v42, s7, v34, v29, s7
	s_clause 0x4
	global_load_dwordx4 v[25:28], v[26:27], off
	global_load_dwordx4 v[29:32], v[35:36], off
	;; [unrolled: 1-line block ×5, first 2 shown]
	v_add3_u32 v57, v54, v58, v59
	v_cndmask_b32_e64 v58, 0, 0x5340, s0
	v_cndmask_b32_e64 v59, 0, 0x5340, s1
	;; [unrolled: 1-line block ×5, first 2 shown]
	v_add3_u32 v47, v54, v47, v58
	v_add3_u32 v49, v54, v49, v59
	;; [unrolled: 1-line block ×5, first 2 shown]
	s_mov_b32 s14, 0xf8bb580b
	s_mov_b32 s24, 0x8eee2c13
	;; [unrolled: 1-line block ×15, first 2 shown]
	v_cmp_eq_u32_e32 vcc_lo, 0, v0
	s_mul_i32 s10, s20, s23
	s_mul_i32 s12, s12, s22
	s_lshl_b64 s[0:1], s[10:11], 4
	s_mul_i32 s20, s30, s33
	s_waitcnt vmcnt(10)
	ds_write_b128 v54, v[1:4]
	s_waitcnt vmcnt(9)
	ds_write_b128 v54, v[5:8] offset:1936
	s_waitcnt vmcnt(8)
	ds_write_b128 v54, v[9:12] offset:3872
	s_waitcnt vmcnt(7)
	ds_write_b128 v53, v[13:16]
	s_waitcnt vmcnt(6)
	ds_write_b128 v57, v[17:20]
	s_waitcnt vmcnt(5)
	ds_write_b128 v56, v[21:24]
	s_waitcnt vmcnt(4)
	ds_write_b128 v47, v[25:28]
	s_waitcnt vmcnt(3)
	ds_write_b128 v49, v[29:32]
	s_waitcnt vmcnt(2)
	ds_write_b128 v50, v[33:36]
	s_waitcnt vmcnt(1)
	ds_write_b128 v51, v[37:40]
	s_waitcnt vmcnt(0)
	ds_write_b128 v52, v[41:44]
	s_waitcnt lgkmcnt(0)
	s_barrier
	buffer_gl0_inv
	ds_read_b128 v[1:4], v55
	ds_read_b128 v[5:8], v55 offset:1936
	ds_read_b128 v[9:12], v55 offset:19360
	;; [unrolled: 1-line block ×5, first 2 shown]
	v_lshrrev_b16 v47, 11, v60
	ds_read_b128 v[25:28], v55 offset:13552
	ds_read_b128 v[29:32], v55 offset:15488
	;; [unrolled: 1-line block ×5, first 2 shown]
	v_mov_b32_e32 v53, 10
	s_waitcnt lgkmcnt(0)
	v_mul_lo_u16 v49, v47, 11
	s_barrier
	buffer_gl0_inv
	v_sub_nc_u16 v48, v48, v49
	v_add_f64 v[49:50], v[1:2], v[5:6]
	v_add_f64 v[51:52], v[3:4], v[7:8]
	v_add_f64 v[56:57], v[7:8], -v[11:12]
	v_add_f64 v[58:59], v[5:6], v[9:10]
	v_add_f64 v[5:6], v[5:6], -v[9:10]
	;; [unrolled: 2-line block ×3, first 2 shown]
	v_add_f64 v[74:75], v[37:38], -v[33:34]
	v_add_f64 v[88:89], v[37:38], v[33:34]
	v_add_f64 v[90:91], v[39:40], v[35:36]
	v_add_f64 v[64:65], v[17:18], -v[21:22]
	v_add_f64 v[66:67], v[19:20], -v[23:24]
	;; [unrolled: 1-line block ×6, first 2 shown]
	v_add_f64 v[68:69], v[13:14], v[25:26]
	v_add_f64 v[70:71], v[15:16], v[27:28]
	;; [unrolled: 1-line block ×8, first 2 shown]
	v_mul_f64 v[49:50], v[56:57], s[14:15]
	v_mul_f64 v[51:52], v[56:57], s[24:25]
	;; [unrolled: 1-line block ×20, first 2 shown]
	v_add_f64 v[37:38], v[37:38], v[41:42]
	v_add_f64 v[39:40], v[39:40], v[43:44]
	v_fma_f64 v[41:42], v[58:59], s[40:41], -v[49:50]
	v_fma_f64 v[43:44], v[58:59], s[40:41], v[49:50]
	v_fma_f64 v[49:50], v[58:59], s[36:37], -v[51:52]
	v_fma_f64 v[51:52], v[58:59], s[36:37], v[51:52]
	;; [unrolled: 2-line block ×5, first 2 shown]
	v_fma_f64 v[58:59], v[7:8], s[40:41], v[96:97]
	v_fma_f64 v[174:175], v[7:8], s[36:37], v[98:99]
	v_mul_f64 v[136:137], v[72:73], s[6:7]
	v_mul_f64 v[138:139], v[74:75], s[6:7]
	;; [unrolled: 1-line block ×8, first 2 shown]
	v_add_f64 v[13:14], v[37:38], v[13:14]
	v_add_f64 v[15:16], v[39:40], v[15:16]
	v_mul_f64 v[162:163], v[82:83], s[34:35]
	v_mul_f64 v[164:165], v[66:67], s[2:3]
	;; [unrolled: 1-line block ×7, first 2 shown]
	v_fma_f64 v[96:97], v[7:8], s[40:41], -v[96:97]
	v_fma_f64 v[176:177], v[7:8], s[38:39], v[100:101]
	v_mul_f64 v[110:111], v[78:79], s[16:17]
	v_mul_f64 v[112:113], v[80:81], s[26:27]
	;; [unrolled: 1-line block ×15, first 2 shown]
	v_fma_f64 v[178:179], v[7:8], s[42:43], v[102:103]
	v_fma_f64 v[180:181], v[7:8], s[44:45], v[5:6]
	v_fma_f64 v[5:6], v[7:8], s[44:45], -v[5:6]
	v_fma_f64 v[102:103], v[7:8], s[42:43], -v[102:103]
	;; [unrolled: 1-line block ×4, first 2 shown]
	v_add_f64 v[13:14], v[13:14], v[17:18]
	v_add_f64 v[15:16], v[15:16], v[19:20]
	v_fma_f64 v[7:8], v[88:89], s[36:37], -v[104:105]
	v_fma_f64 v[182:183], v[90:91], s[36:37], v[106:107]
	v_add_f64 v[17:18], v[1:2], v[41:42]
	v_add_f64 v[19:20], v[3:4], v[58:59]
	v_fma_f64 v[104:105], v[88:89], s[36:37], v[104:105]
	v_fma_f64 v[196:197], v[88:89], s[42:43], -v[120:121]
	v_fma_f64 v[198:199], v[90:91], s[42:43], v[122:123]
	v_add_f64 v[41:42], v[1:2], v[43:44]
	v_add_f64 v[49:50], v[1:2], v[49:50]
	;; [unrolled: 1-line block ×3, first 2 shown]
	v_fma_f64 v[184:185], v[84:85], s[38:39], -v[108:109]
	v_fma_f64 v[192:193], v[60:61], s[44:45], -v[116:117]
	v_fma_f64 v[194:195], v[62:63], s[44:45], v[118:119]
	v_fma_f64 v[106:107], v[90:91], s[36:37], -v[106:107]
	v_fma_f64 v[108:109], v[84:85], s[38:39], v[108:109]
	v_fma_f64 v[116:117], v[60:61], s[44:45], v[116:117]
	v_fma_f64 v[118:119], v[62:63], s[44:45], -v[118:119]
	v_fma_f64 v[200:201], v[84:85], s[44:45], -v[124:125]
	;; [unrolled: 1-line block ×3, first 2 shown]
	v_fma_f64 v[210:211], v[62:63], s[40:41], v[134:135]
	v_fma_f64 v[120:121], v[88:89], s[42:43], v[120:121]
	v_fma_f64 v[122:123], v[90:91], s[42:43], -v[122:123]
	v_fma_f64 v[124:125], v[84:85], s[44:45], v[124:125]
	v_fma_f64 v[132:133], v[60:61], s[40:41], v[132:133]
	v_fma_f64 v[134:135], v[62:63], s[40:41], -v[134:135]
	v_fma_f64 v[212:213], v[88:89], s[44:45], -v[136:137]
	v_fma_f64 v[214:215], v[90:91], s[44:45], v[138:139]
	v_fma_f64 v[216:217], v[84:85], s[36:37], -v[140:141]
	v_fma_f64 v[224:225], v[60:61], s[42:43], -v[148:149]
	v_fma_f64 v[226:227], v[62:63], s[42:43], v[150:151]
	v_fma_f64 v[138:139], v[90:91], s[44:45], -v[138:139]
	v_fma_f64 v[140:141], v[84:85], s[36:37], v[140:141]
	v_fma_f64 v[148:149], v[60:61], s[42:43], v[148:149]
	v_fma_f64 v[150:151], v[62:63], s[42:43], -v[150:151]
	v_fma_f64 v[230:231], v[90:91], s[38:39], v[154:155]
	v_fma_f64 v[232:233], v[84:85], s[40:41], -v[156:157]
	v_fma_f64 v[236:237], v[68:69], s[44:45], -v[160:161]
	v_fma_f64 v[238:239], v[70:71], s[44:45], v[162:163]
	v_fma_f64 v[240:241], v[60:61], s[36:37], -v[164:165]
	v_fma_f64 v[242:243], v[62:63], s[36:37], v[166:167]
	;; [unrolled: 2-line block ×3, first 2 shown]
	v_fma_f64 v[37:38], v[68:69], s[44:45], v[160:161]
	v_fma_f64 v[39:40], v[70:71], s[44:45], -v[162:163]
	v_fma_f64 v[160:161], v[60:61], s[36:37], v[164:165]
	v_fma_f64 v[162:163], v[62:63], s[36:37], -v[166:167]
	;; [unrolled: 2-line block ×3, first 2 shown]
	v_fma_f64 v[74:75], v[90:91], s[40:41], -v[74:75]
	v_fma_f64 v[90:91], v[60:61], s[38:39], -v[66:67]
	v_fma_f64 v[76:77], v[84:85], s[42:43], v[76:77]
	v_fma_f64 v[84:85], v[62:63], s[38:39], v[64:65]
	;; [unrolled: 1-line block ×3, first 2 shown]
	v_fma_f64 v[62:63], v[62:63], s[38:39], -v[64:65]
	v_add_f64 v[43:44], v[3:4], v[96:97]
	v_add_f64 v[51:52], v[1:2], v[51:52]
	;; [unrolled: 1-line block ×4, first 2 shown]
	v_fma_f64 v[186:187], v[86:87], s[38:39], v[110:111]
	v_fma_f64 v[188:189], v[68:69], s[42:43], -v[112:113]
	v_fma_f64 v[190:191], v[70:71], s[42:43], v[114:115]
	v_fma_f64 v[110:111], v[86:87], s[38:39], -v[110:111]
	;; [unrolled: 2-line block ×7, first 2 shown]
	v_fma_f64 v[222:223], v[70:71], s[40:41], v[146:147]
	v_fma_f64 v[136:137], v[88:89], s[44:45], v[136:137]
	v_fma_f64 v[142:143], v[86:87], s[36:37], -v[142:143]
	v_fma_f64 v[144:145], v[68:69], s[40:41], v[144:145]
	v_fma_f64 v[146:147], v[70:71], s[40:41], -v[146:147]
	v_fma_f64 v[228:229], v[88:89], s[38:39], -v[152:153]
	v_fma_f64 v[234:235], v[86:87], s[40:41], v[158:159]
	v_fma_f64 v[152:153], v[88:89], s[38:39], v[152:153]
	v_fma_f64 v[158:159], v[86:87], s[40:41], -v[158:159]
	v_fma_f64 v[164:165], v[88:89], s[40:41], -v[72:73]
	v_fma_f64 v[246:247], v[86:87], s[42:43], v[78:79]
	v_fma_f64 v[248:249], v[68:69], s[36:37], -v[80:81]
	v_fma_f64 v[72:73], v[88:89], s[40:41], v[72:73]
	v_fma_f64 v[88:89], v[70:71], s[36:37], v[82:83]
	v_fma_f64 v[78:79], v[86:87], s[42:43], -v[78:79]
	v_fma_f64 v[68:69], v[68:69], s[36:37], v[80:81]
	v_fma_f64 v[70:71], v[70:71], s[36:37], -v[82:83]
	v_add_f64 v[80:81], v[1:2], v[92:93]
	v_add_f64 v[82:83], v[1:2], v[170:171]
	;; [unrolled: 1-line block ×101, first 2 shown]
	v_mul_u32_u24_sdwa v49, v48, v53 dst_sel:DWORD dst_unused:UNUSED_PAD src0_sel:BYTE_0 src1_sel:DWORD
	v_mad_u32_u24 v50, 0xa0, v46, v55
	ds_write_b128 v50, v[1:4] offset:16
	ds_write_b128 v50, v[13:16] offset:32
	;; [unrolled: 1-line block ×10, first 2 shown]
	ds_write_b128 v50, v[9:12]
	v_lshlrev_b32_e32 v53, 4, v49
	s_waitcnt lgkmcnt(0)
	s_barrier
	buffer_gl0_inv
	s_clause 0x9
	global_load_dwordx4 v[5:8], v53, s[8:9]
	global_load_dwordx4 v[9:12], v53, s[8:9] offset:144
	global_load_dwordx4 v[13:16], v53, s[8:9] offset:16
	;; [unrolled: 1-line block ×9, first 2 shown]
	ds_read_b128 v[29:32], v55 offset:1936
	ds_read_b128 v[33:36], v55 offset:19360
	;; [unrolled: 1-line block ×10, first 2 shown]
	ds_read_b128 v[1:4], v55
	v_mov_b32_e32 v53, 0x790
	s_waitcnt vmcnt(0) lgkmcnt(0)
	s_barrier
	buffer_gl0_inv
	v_mul_f64 v[41:42], v[31:32], v[7:8]
	v_mul_f64 v[7:8], v[29:30], v[7:8]
	;; [unrolled: 1-line block ×20, first 2 shown]
	v_fma_f64 v[41:42], v[29:30], v[5:6], -v[41:42]
	v_fma_f64 v[43:44], v[31:32], v[5:6], v[7:8]
	v_fma_f64 v[5:6], v[35:36], v[9:10], v[96:97]
	v_fma_f64 v[7:8], v[33:34], v[9:10], -v[11:12]
	v_fma_f64 v[37:38], v[37:38], v[13:14], -v[98:99]
	v_fma_f64 v[39:40], v[39:40], v[13:14], v[15:16]
	v_fma_f64 v[9:10], v[74:75], v[21:22], v[102:103]
	v_fma_f64 v[11:12], v[72:73], v[21:22], -v[23:24]
	;; [unrolled: 4-line block ×3, first 2 shown]
	v_fma_f64 v[25:26], v[84:85], v[56:57], -v[108:109]
	v_fma_f64 v[27:28], v[86:87], v[56:57], v[58:59]
	v_fma_f64 v[33:34], v[68:69], v[17:18], -v[100:101]
	v_fma_f64 v[35:36], v[70:71], v[17:18], v[19:20]
	v_fma_f64 v[17:18], v[90:91], v[60:61], v[110:111]
	v_fma_f64 v[19:20], v[88:89], v[60:61], -v[62:63]
	v_fma_f64 v[21:22], v[94:95], v[64:65], v[112:113]
	v_fma_f64 v[23:24], v[92:93], v[64:65], -v[66:67]
	v_add_f64 v[49:50], v[43:44], -v[5:6]
	v_add_f64 v[51:52], v[41:42], v[7:8]
	v_add_f64 v[56:57], v[41:42], -v[7:8]
	v_add_f64 v[58:59], v[43:44], v[5:6]
	v_add_f64 v[41:42], v[1:2], v[41:42]
	;; [unrolled: 1-line block ×3, first 2 shown]
	v_add_f64 v[60:61], v[39:40], -v[9:10]
	v_add_f64 v[62:63], v[37:38], v[11:12]
	v_add_f64 v[64:65], v[37:38], -v[11:12]
	v_add_f64 v[66:67], v[39:40], v[9:10]
	v_add_f64 v[70:71], v[33:34], v[15:16]
	v_add_f64 v[68:69], v[35:36], -v[13:14]
	v_add_f64 v[72:73], v[33:34], -v[15:16]
	v_add_f64 v[74:75], v[35:36], v[13:14]
	v_add_f64 v[76:77], v[31:32], -v[17:18]
	v_add_f64 v[78:79], v[29:30], -v[19:20]
	;; [unrolled: 1-line block ×4, first 2 shown]
	v_add_f64 v[84:85], v[29:30], v[19:20]
	v_add_f64 v[86:87], v[31:32], v[17:18]
	v_mul_f64 v[92:93], v[49:50], s[14:15]
	v_mul_f64 v[94:95], v[49:50], s[24:25]
	;; [unrolled: 1-line block ×4, first 2 shown]
	v_add_f64 v[37:38], v[41:42], v[37:38]
	v_add_f64 v[39:40], v[43:44], v[39:40]
	v_mul_f64 v[49:50], v[49:50], s[34:35]
	v_mul_f64 v[100:101], v[56:57], s[14:15]
	;; [unrolled: 1-line block ×8, first 2 shown]
	v_add_f64 v[88:89], v[25:26], v[23:24]
	v_add_f64 v[90:91], v[27:28], v[21:22]
	v_mul_f64 v[112:113], v[68:69], s[16:17]
	v_mul_f64 v[114:115], v[72:73], s[16:17]
	;; [unrolled: 1-line block ×6, first 2 shown]
	v_fma_f64 v[41:42], v[51:52], s[40:41], -v[92:93]
	v_fma_f64 v[43:44], v[51:52], s[40:41], v[92:93]
	v_fma_f64 v[92:93], v[51:52], s[36:37], -v[94:95]
	v_fma_f64 v[94:95], v[51:52], s[36:37], v[94:95]
	v_add_f64 v[33:34], v[37:38], v[33:34]
	v_add_f64 v[35:36], v[39:40], v[35:36]
	v_fma_f64 v[172:173], v[51:52], s[38:39], -v[96:97]
	v_fma_f64 v[96:97], v[51:52], s[38:39], v[96:97]
	v_fma_f64 v[174:175], v[51:52], s[42:43], -v[98:99]
	v_fma_f64 v[98:99], v[51:52], s[42:43], v[98:99]
	;; [unrolled: 2-line block ×3, first 2 shown]
	v_fma_f64 v[51:52], v[58:59], s[40:41], v[100:101]
	v_mul_f64 v[124:125], v[60:61], s[26:27]
	v_mul_f64 v[126:127], v[64:65], s[26:27]
	;; [unrolled: 1-line block ×13, first 2 shown]
	v_add_f64 v[29:30], v[33:34], v[29:30]
	v_add_f64 v[31:32], v[35:36], v[31:32]
	v_mul_f64 v[150:151], v[78:79], s[14:15]
	v_mul_f64 v[152:153], v[80:81], s[26:27]
	;; [unrolled: 1-line block ×19, first 2 shown]
	v_fma_f64 v[100:101], v[58:59], s[40:41], -v[100:101]
	v_fma_f64 v[178:179], v[58:59], s[36:37], v[102:103]
	v_fma_f64 v[180:181], v[58:59], s[38:39], v[104:105]
	;; [unrolled: 1-line block ×4, first 2 shown]
	v_fma_f64 v[56:57], v[58:59], s[44:45], -v[56:57]
	v_fma_f64 v[106:107], v[58:59], s[42:43], -v[106:107]
	;; [unrolled: 1-line block ×4, first 2 shown]
	v_add_f64 v[25:26], v[29:30], v[25:26]
	v_add_f64 v[27:28], v[31:32], v[27:28]
	v_fma_f64 v[58:59], v[62:63], s[36:37], -v[108:109]
	v_fma_f64 v[186:187], v[66:67], s[36:37], v[110:111]
	v_add_f64 v[29:30], v[1:2], v[41:42]
	v_add_f64 v[31:32], v[3:4], v[51:52]
	v_fma_f64 v[188:189], v[70:71], s[38:39], -v[112:113]
	v_fma_f64 v[190:191], v[74:75], s[38:39], v[114:115]
	v_fma_f64 v[108:109], v[62:63], s[36:37], v[108:109]
	v_fma_f64 v[110:111], v[66:67], s[36:37], -v[110:111]
	v_fma_f64 v[112:113], v[70:71], s[38:39], v[112:113]
	v_fma_f64 v[114:115], v[74:75], s[38:39], -v[114:115]
	v_fma_f64 v[200:201], v[62:63], s[42:43], -v[124:125]
	v_fma_f64 v[202:203], v[66:67], s[42:43], v[126:127]
	v_fma_f64 v[204:205], v[70:71], s[44:45], -v[128:129]
	v_fma_f64 v[206:207], v[74:75], s[44:45], v[130:131]
	v_fma_f64 v[124:125], v[62:63], s[42:43], v[124:125]
	v_fma_f64 v[126:127], v[66:67], s[42:43], -v[126:127]
	v_fma_f64 v[128:129], v[70:71], s[44:45], v[128:129]
	v_fma_f64 v[130:131], v[74:75], s[44:45], -v[130:131]
	v_fma_f64 v[216:217], v[62:63], s[44:45], -v[140:141]
	v_fma_f64 v[218:219], v[66:67], s[44:45], v[142:143]
	v_fma_f64 v[220:221], v[70:71], s[36:37], -v[144:145]
	v_fma_f64 v[222:223], v[74:75], s[36:37], v[146:147]
	v_fma_f64 v[224:225], v[84:85], s[40:41], -v[148:149]
	v_fma_f64 v[226:227], v[86:87], s[40:41], v[150:151]
	v_fma_f64 v[228:229], v[88:89], s[42:43], -v[152:153]
	v_fma_f64 v[230:231], v[90:91], s[42:43], v[154:155]
	v_fma_f64 v[37:38], v[62:63], s[44:45], v[140:141]
	v_fma_f64 v[39:40], v[66:67], s[44:45], -v[142:143]
	v_fma_f64 v[140:141], v[70:71], s[36:37], v[144:145]
	v_fma_f64 v[142:143], v[74:75], s[36:37], -v[146:147]
	;; [unrolled: 2-line block ×4, first 2 shown]
	v_fma_f64 v[152:153], v[62:63], s[38:39], -v[156:157]
	v_fma_f64 v[154:155], v[66:67], s[38:39], v[158:159]
	v_fma_f64 v[232:233], v[70:71], s[40:41], -v[160:161]
	v_fma_f64 v[234:235], v[74:75], s[40:41], v[162:163]
	;; [unrolled: 2-line block ×4, first 2 shown]
	v_fma_f64 v[156:157], v[62:63], s[38:39], v[156:157]
	v_fma_f64 v[158:159], v[66:67], s[38:39], -v[158:159]
	v_fma_f64 v[160:161], v[70:71], s[40:41], v[160:161]
	v_fma_f64 v[162:163], v[74:75], s[40:41], -v[162:163]
	v_fma_f64 v[33:34], v[84:85], s[44:45], v[164:165]
	v_fma_f64 v[35:36], v[86:87], s[44:45], -v[166:167]
	v_fma_f64 v[164:165], v[88:89], s[36:37], v[168:169]
	v_fma_f64 v[166:167], v[90:91], s[36:37], -v[170:171]
	v_fma_f64 v[168:169], v[62:63], s[40:41], -v[60:61]
	v_fma_f64 v[170:171], v[66:67], s[40:41], v[64:65]
	v_fma_f64 v[244:245], v[70:71], s[42:43], -v[68:69]
	v_fma_f64 v[246:247], v[74:75], s[42:43], v[72:73]
	;; [unrolled: 2-line block ×3, first 2 shown]
	v_fma_f64 v[62:63], v[86:87], s[36:37], v[78:79]
	v_fma_f64 v[64:65], v[66:67], s[40:41], -v[64:65]
	v_fma_f64 v[66:67], v[88:89], s[38:39], -v[80:81]
	v_fma_f64 v[68:69], v[70:71], s[42:43], v[68:69]
	v_fma_f64 v[70:71], v[90:91], s[38:39], v[82:83]
	v_fma_f64 v[72:73], v[74:75], s[42:43], -v[72:73]
	v_fma_f64 v[74:75], v[84:85], s[36:37], v[76:77]
	v_fma_f64 v[76:77], v[86:87], s[36:37], -v[78:79]
	;; [unrolled: 2-line block ×3, first 2 shown]
	v_add_f64 v[41:42], v[1:2], v[43:44]
	v_add_f64 v[43:44], v[3:4], v[100:101]
	;; [unrolled: 1-line block ×4, first 2 shown]
	v_fma_f64 v[192:193], v[84:85], s[42:43], -v[116:117]
	v_fma_f64 v[194:195], v[86:87], s[42:43], v[118:119]
	v_fma_f64 v[196:197], v[88:89], s[44:45], -v[120:121]
	v_fma_f64 v[116:117], v[84:85], s[42:43], v[116:117]
	v_fma_f64 v[118:119], v[86:87], s[42:43], -v[118:119]
	v_fma_f64 v[120:121], v[88:89], s[44:45], v[120:121]
	v_fma_f64 v[208:209], v[84:85], s[38:39], -v[132:133]
	v_fma_f64 v[210:211], v[86:87], s[38:39], v[134:135]
	v_fma_f64 v[212:213], v[88:89], s[40:41], -v[136:137]
	v_fma_f64 v[132:133], v[84:85], s[38:39], v[132:133]
	v_fma_f64 v[134:135], v[86:87], s[38:39], -v[134:135]
	v_fma_f64 v[136:137], v[88:89], s[40:41], v[136:137]
	v_add_f64 v[84:85], v[1:2], v[94:95]
	v_add_f64 v[86:87], v[1:2], v[172:173]
	;; [unrolled: 1-line block ×5, first 2 shown]
	v_fma_f64 v[198:199], v[90:91], s[44:45], v[122:123]
	v_fma_f64 v[122:123], v[90:91], s[44:45], -v[122:123]
	v_fma_f64 v[214:215], v[90:91], s[40:41], v[138:139]
	v_fma_f64 v[138:139], v[90:91], s[40:41], -v[138:139]
	v_add_f64 v[90:91], v[1:2], v[96:97]
	v_add_f64 v[96:97], v[1:2], v[98:99]
	;; [unrolled: 1-line block ×99, first 2 shown]
	v_mul_u32_u24_sdwa v5, v47, v53 dst_sel:DWORD dst_unused:UNUSED_PAD src0_sel:WORD_0 src1_sel:DWORD
	v_lshlrev_b32_sdwa v6, v250, v48 dst_sel:DWORD dst_unused:UNUSED_PAD src0_sel:DWORD src1_sel:BYTE_0
	v_mul_u32_u24_e32 v7, 10, v46
	v_add3_u32 v5, 0, v5, v6
	v_lshlrev_b32_e32 v46, 4, v7
	ds_write_b128 v5, v[1:4] offset:176
	ds_write_b128 v5, v[13:16] offset:352
	;; [unrolled: 1-line block ×10, first 2 shown]
	ds_write_b128 v5, v[49:52]
	s_waitcnt lgkmcnt(0)
	s_barrier
	buffer_gl0_inv
	s_clause 0x9
	global_load_dwordx4 v[5:8], v46, s[8:9] offset:1760
	global_load_dwordx4 v[1:4], v46, s[8:9] offset:1776
	;; [unrolled: 1-line block ×10, first 2 shown]
	ds_read_b128 v[56:59], v55 offset:1936
	ds_read_b128 v[60:63], v55 offset:3872
	;; [unrolled: 1-line block ×10, first 2 shown]
	ds_read_b128 v[96:99], v55
	v_mul_lo_u32 v44, v0, s28
	s_mul_i32 s9, s28, 0x79
	s_add_u32 s8, s18, s0
	s_addc_u32 s10, s19, s1
	s_lshl_b64 s[0:1], s[12:13], 4
	s_waitcnt vmcnt(0) lgkmcnt(0)
	s_add_u32 s0, s8, s0
	s_addc_u32 s8, s10, s1
	v_lshlrev_b64 v[41:42], 4, v[44:45]
	v_add_nc_u32_e32 v44, s9, v44
	s_lshl_b64 s[10:11], s[20:21], 4
	s_barrier
	s_add_u32 s1, s0, s10
	s_addc_u32 s8, s8, s11
	v_lshlrev_b64 v[46:47], 4, v[44:45]
	v_add_nc_u32_e32 v44, s9, v44
	v_add_co_u32 v41, s0, s1, v41
	v_add_co_ci_u32_e64 v42, s0, s8, v42, s0
	v_lshlrev_b64 v[48:49], 4, v[44:45]
	v_add_nc_u32_e32 v44, s9, v44
	v_add_co_u32 v46, s0, s1, v46
	v_add_co_ci_u32_e64 v47, s0, s8, v47, s0
	;; [unrolled: 4-line block ×5, first 2 shown]
	v_lshlrev_b64 v[102:103], 4, v[44:45]
	v_add_co_u32 v100, s0, s1, v100
	v_add_co_ci_u32_e64 v101, s0, s8, v101, s0
	v_add_nc_u32_e32 v44, s9, v44
	buffer_gl0_inv
	v_mul_f64 v[104:105], v[58:59], v[7:8]
	v_mul_f64 v[7:8], v[56:57], v[7:8]
	;; [unrolled: 1-line block ×20, first 2 shown]
	v_fma_f64 v[56:57], v[56:57], v[5:6], -v[104:105]
	v_fma_f64 v[5:6], v[58:59], v[5:6], v[7:8]
	v_fma_f64 v[58:59], v[66:67], v[29:30], v[108:109]
	v_fma_f64 v[64:65], v[64:65], v[29:30], -v[31:32]
	v_fma_f64 v[7:8], v[60:61], v[1:2], -v[106:107]
	v_fma_f64 v[0:1], v[62:63], v[1:2], v[3:4]
	v_fma_f64 v[2:3], v[68:69], v[13:14], -v[110:111]
	v_fma_f64 v[13:14], v[70:71], v[13:14], v[15:16]
	;; [unrolled: 2-line block ×3, first 2 shown]
	v_fma_f64 v[15:16], v[86:87], v[37:38], v[114:115]
	v_fma_f64 v[29:30], v[84:85], v[37:38], -v[39:40]
	v_add_co_u32 v60, s0, s1, v102
	v_fma_f64 v[11:12], v[82:83], v[33:34], v[118:119]
	v_fma_f64 v[33:34], v[80:81], v[33:34], -v[35:36]
	v_fma_f64 v[35:36], v[76:77], v[21:22], -v[116:117]
	v_fma_f64 v[21:22], v[78:79], v[21:22], v[23:24]
	v_fma_f64 v[23:24], v[94:95], v[25:26], v[122:123]
	v_fma_f64 v[25:26], v[92:93], v[25:26], -v[27:28]
	v_fma_f64 v[19:20], v[90:91], v[17:18], v[19:20]
	v_fma_f64 v[17:18], v[88:89], v[17:18], -v[120:121]
	v_add_co_ci_u32_e64 v61, s0, s8, v103, s0
	v_add_f64 v[27:28], v[5:6], -v[58:59]
	v_add_f64 v[37:38], v[56:57], v[64:65]
	v_add_f64 v[39:40], v[56:57], -v[64:65]
	v_add_f64 v[62:63], v[5:6], v[58:59]
	v_add_f64 v[56:57], v[96:97], v[56:57]
	;; [unrolled: 1-line block ×3, first 2 shown]
	v_add_f64 v[66:67], v[0:1], -v[15:16]
	v_add_f64 v[68:69], v[7:8], v[29:30]
	v_add_f64 v[70:71], v[7:8], -v[29:30]
	v_add_f64 v[72:73], v[0:1], v[15:16]
	;; [unrolled: 2-line block ×4, first 2 shown]
	v_add_f64 v[82:83], v[9:10], -v[23:24]
	v_add_f64 v[84:85], v[31:32], -v[25:26]
	;; [unrolled: 1-line block ×4, first 2 shown]
	v_add_f64 v[90:91], v[31:32], v[25:26]
	v_add_f64 v[92:93], v[9:10], v[23:24]
	v_mul_f64 v[104:105], v[27:28], s[14:15]
	v_mul_f64 v[106:107], v[27:28], s[24:25]
	;; [unrolled: 1-line block ×4, first 2 shown]
	v_add_f64 v[6:7], v[56:57], v[7:8]
	v_add_f64 v[0:1], v[4:5], v[0:1]
	v_mul_f64 v[27:28], v[27:28], s[34:35]
	v_mul_f64 v[112:113], v[39:40], s[14:15]
	;; [unrolled: 1-line block ×12, first 2 shown]
	v_add_f64 v[94:95], v[35:36], v[17:18]
	v_add_f64 v[102:103], v[21:22], v[19:20]
	v_mul_f64 v[156:157], v[74:75], s[2:3]
	v_mul_f64 v[158:159], v[78:79], s[2:3]
	v_fma_f64 v[4:5], v[37:38], s[40:41], -v[104:105]
	v_fma_f64 v[56:57], v[37:38], s[40:41], v[104:105]
	v_fma_f64 v[104:105], v[37:38], s[36:37], -v[106:107]
	v_fma_f64 v[106:107], v[37:38], s[36:37], v[106:107]
	v_add_f64 v[2:3], v[6:7], v[2:3]
	v_add_f64 v[0:1], v[0:1], v[13:14]
	v_fma_f64 v[184:185], v[37:38], s[38:39], -v[108:109]
	v_fma_f64 v[108:109], v[37:38], s[38:39], v[108:109]
	v_fma_f64 v[186:187], v[37:38], s[42:43], -v[110:111]
	v_fma_f64 v[110:111], v[37:38], s[42:43], v[110:111]
	;; [unrolled: 2-line block ×3, first 2 shown]
	v_fma_f64 v[37:38], v[62:63], s[40:41], v[112:113]
	v_fma_f64 v[112:113], v[62:63], s[40:41], -v[112:113]
	v_fma_f64 v[190:191], v[62:63], s[36:37], v[114:115]
	v_fma_f64 v[114:115], v[62:63], s[36:37], -v[114:115]
	v_fma_f64 v[192:193], v[62:63], s[38:39], v[116:117]
	v_mul_f64 v[160:161], v[82:83], s[14:15]
	v_mul_f64 v[162:163], v[84:85], s[14:15]
	;; [unrolled: 1-line block ×6, first 2 shown]
	v_fma_f64 v[116:117], v[62:63], s[38:39], -v[116:117]
	v_fma_f64 v[194:195], v[62:63], s[42:43], v[118:119]
	v_mul_f64 v[66:67], v[66:67], s[4:5]
	v_add_f64 v[2:3], v[2:3], v[31:32]
	v_add_f64 v[0:1], v[0:1], v[9:10]
	v_mul_f64 v[70:71], v[70:71], s[4:5]
	v_fma_f64 v[196:197], v[62:63], s[44:45], v[39:40]
	v_fma_f64 v[39:40], v[62:63], s[44:45], -v[39:40]
	v_fma_f64 v[118:119], v[62:63], s[42:43], -v[118:119]
	v_mul_f64 v[124:125], v[74:75], s[16:17]
	v_mul_f64 v[126:127], v[78:79], s[16:17]
	v_fma_f64 v[62:63], v[68:69], s[36:37], -v[120:121]
	v_fma_f64 v[198:199], v[72:73], s[36:37], v[122:123]
	v_add_f64 v[4:5], v[96:97], v[4:5]
	v_mul_f64 v[140:141], v[74:75], s[6:7]
	v_mul_f64 v[142:143], v[78:79], s[6:7]
	v_fma_f64 v[120:121], v[68:69], s[36:37], v[120:121]
	v_fma_f64 v[122:123], v[72:73], s[36:37], -v[122:123]
	v_fma_f64 v[212:213], v[68:69], s[42:43], -v[136:137]
	v_fma_f64 v[214:215], v[72:73], s[42:43], v[138:139]
	v_fma_f64 v[136:137], v[68:69], s[42:43], v[136:137]
	v_fma_f64 v[138:139], v[72:73], s[42:43], -v[138:139]
	v_fma_f64 v[228:229], v[68:69], s[44:45], -v[152:153]
	v_fma_f64 v[230:231], v[72:73], s[44:45], v[154:155]
	v_add_f64 v[106:107], v[96:97], v[106:107]
	v_add_f64 v[2:3], v[2:3], v[35:36]
	;; [unrolled: 1-line block ×11, first 2 shown]
	v_mul_f64 v[172:173], v[74:75], s[14:15]
	v_mul_f64 v[174:175], v[78:79], s[14:15]
	v_fma_f64 v[232:233], v[76:77], s[36:37], -v[156:157]
	v_fma_f64 v[234:235], v[80:81], s[36:37], v[158:159]
	v_fma_f64 v[236:237], v[90:91], s[40:41], -v[160:161]
	v_fma_f64 v[238:239], v[92:93], s[40:41], v[162:163]
	;; [unrolled: 2-line block ×3, first 2 shown]
	v_fma_f64 v[6:7], v[68:69], s[44:45], v[152:153]
	v_fma_f64 v[152:153], v[72:73], s[44:45], -v[154:155]
	v_fma_f64 v[154:155], v[76:77], s[36:37], v[156:157]
	v_fma_f64 v[156:157], v[80:81], s[36:37], -v[158:159]
	;; [unrolled: 2-line block ×4, first 2 shown]
	v_fma_f64 v[13:14], v[68:69], s[38:39], -v[168:169]
	v_fma_f64 v[166:167], v[72:73], s[38:39], v[170:171]
	v_add_f64 v[108:109], v[96:97], v[108:109]
	v_add_f64 v[116:117], v[98:99], v[116:117]
	;; [unrolled: 1-line block ×4, first 2 shown]
	v_mul_f64 v[74:75], v[74:75], s[26:27]
	v_mul_f64 v[78:79], v[78:79], s[26:27]
	v_fma_f64 v[252:253], v[68:69], s[40:41], -v[66:67]
	v_fma_f64 v[8:9], v[72:73], s[40:41], v[70:71]
	v_add_f64 v[188:189], v[96:97], v[188:189]
	v_add_f64 v[192:193], v[98:99], v[196:197]
	v_fma_f64 v[66:67], v[68:69], s[40:41], v[66:67]
	v_fma_f64 v[70:71], v[72:73], s[40:41], -v[70:71]
	v_add_f64 v[27:28], v[96:97], v[27:28]
	v_add_f64 v[39:40], v[98:99], v[39:40]
	v_fma_f64 v[168:169], v[68:69], s[38:39], v[168:169]
	v_fma_f64 v[170:171], v[72:73], s[38:39], -v[170:171]
	v_add_f64 v[110:111], v[96:97], v[110:111]
	v_add_f64 v[96:97], v[98:99], v[118:119]
	;; [unrolled: 1-line block ×4, first 2 shown]
	v_mul_f64 v[128:129], v[82:83], s[26:27]
	v_mul_f64 v[130:131], v[84:85], s[26:27]
	v_fma_f64 v[200:201], v[76:77], s[38:39], -v[124:125]
	v_fma_f64 v[202:203], v[80:81], s[38:39], v[126:127]
	v_add_f64 v[4:5], v[62:63], v[4:5]
	v_add_f64 v[17:18], v[198:199], v[21:22]
	v_mul_f64 v[144:145], v[82:83], s[46:47]
	v_mul_f64 v[146:147], v[84:85], s[46:47]
	v_fma_f64 v[124:125], v[76:77], s[38:39], v[124:125]
	v_fma_f64 v[126:127], v[80:81], s[38:39], -v[126:127]
	v_fma_f64 v[216:217], v[76:77], s[44:45], -v[140:141]
	v_fma_f64 v[218:219], v[80:81], s[44:45], v[142:143]
	v_add_f64 v[19:20], v[120:121], v[35:36]
	v_add_f64 v[21:22], v[122:123], v[37:38]
	;; [unrolled: 1-line block ×4, first 2 shown]
	v_fma_f64 v[140:141], v[76:77], s[44:45], v[140:141]
	v_fma_f64 v[142:143], v[80:81], s[44:45], -v[142:143]
	v_add_f64 v[56:57], v[136:137], v[106:107]
	v_add_f64 v[62:63], v[138:139], v[112:113]
	;; [unrolled: 1-line block ×4, first 2 shown]
	v_mul_f64 v[176:177], v[82:83], s[34:35]
	v_mul_f64 v[178:179], v[84:85], s[34:35]
	v_fma_f64 v[244:245], v[76:77], s[40:41], -v[172:173]
	v_fma_f64 v[246:247], v[80:81], s[40:41], v[174:175]
	v_add_f64 v[6:7], v[6:7], v[108:109]
	v_add_f64 v[106:107], v[152:153], v[116:117]
	;; [unrolled: 1-line block ×4, first 2 shown]
	v_mul_f64 v[82:83], v[82:83], s[2:3]
	v_mul_f64 v[84:85], v[84:85], s[2:3]
	v_fma_f64 v[172:173], v[76:77], s[40:41], v[172:173]
	v_fma_f64 v[72:73], v[76:77], s[42:43], -v[74:75]
	v_fma_f64 v[74:75], v[76:77], s[42:43], v[74:75]
	v_fma_f64 v[76:77], v[80:81], s[42:43], v[78:79]
	v_add_f64 v[112:113], v[252:253], v[188:189]
	v_add_f64 v[8:9], v[8:9], v[192:193]
	v_fma_f64 v[78:79], v[80:81], s[42:43], -v[78:79]
	v_add_f64 v[27:28], v[66:67], v[27:28]
	v_add_f64 v[39:40], v[70:71], v[39:40]
	v_fma_f64 v[174:175], v[80:81], s[40:41], -v[174:175]
	v_add_f64 v[110:111], v[168:169], v[110:111]
	v_add_f64 v[66:67], v[170:171], v[96:97]
	;; [unrolled: 1-line block ×4, first 2 shown]
	v_mul_f64 v[132:133], v[86:87], s[34:35]
	v_mul_f64 v[134:135], v[88:89], s[34:35]
	v_fma_f64 v[204:205], v[90:91], s[42:43], -v[128:129]
	v_fma_f64 v[206:207], v[92:93], s[42:43], v[130:131]
	v_add_f64 v[4:5], v[200:201], v[4:5]
	v_add_f64 v[17:18], v[202:203], v[17:18]
	v_mul_f64 v[148:149], v[86:87], s[4:5]
	v_mul_f64 v[150:151], v[88:89], s[4:5]
	v_fma_f64 v[128:129], v[90:91], s[42:43], v[128:129]
	v_fma_f64 v[130:131], v[92:93], s[42:43], -v[130:131]
	v_fma_f64 v[220:221], v[90:91], s[38:39], -v[144:145]
	v_fma_f64 v[222:223], v[92:93], s[38:39], v[146:147]
	v_add_f64 v[19:20], v[124:125], v[19:20]
	v_add_f64 v[21:22], v[126:127], v[21:22]
	;; [unrolled: 1-line block ×4, first 2 shown]
	v_fma_f64 v[144:145], v[90:91], s[38:39], v[144:145]
	v_fma_f64 v[146:147], v[92:93], s[38:39], -v[146:147]
	v_add_f64 v[35:36], v[140:141], v[56:57]
	v_add_f64 v[37:38], v[142:143], v[62:63]
	;; [unrolled: 1-line block ×4, first 2 shown]
	v_mul_f64 v[180:181], v[86:87], s[2:3]
	v_mul_f64 v[182:183], v[88:89], s[2:3]
	v_fma_f64 v[248:249], v[90:91], s[44:45], -v[176:177]
	v_fma_f64 v[250:251], v[92:93], s[44:45], v[178:179]
	v_add_f64 v[70:71], v[156:157], v[106:107]
	v_add_f64 v[13:14], v[244:245], v[13:14]
	;; [unrolled: 1-line block ×3, first 2 shown]
	v_mul_f64 v[86:87], v[86:87], s[16:17]
	v_mul_f64 v[88:89], v[88:89], s[16:17]
	v_fma_f64 v[176:177], v[90:91], s[44:45], v[176:177]
	v_fma_f64 v[80:81], v[90:91], s[36:37], -v[82:83]
	v_fma_f64 v[82:83], v[90:91], s[36:37], v[82:83]
	v_fma_f64 v[90:91], v[92:93], s[36:37], v[84:85]
	v_add_f64 v[72:73], v[72:73], v[112:113]
	v_add_f64 v[8:9], v[76:77], v[8:9]
	v_fma_f64 v[84:85], v[92:93], s[36:37], -v[84:85]
	v_add_f64 v[27:28], v[74:75], v[27:28]
	v_add_f64 v[39:40], v[78:79], v[39:40]
	v_fma_f64 v[178:179], v[92:93], s[44:45], -v[178:179]
	v_add_f64 v[98:99], v[172:173], v[110:111]
	v_add_f64 v[66:67], v[174:175], v[66:67]
	;; [unrolled: 1-line block ×5, first 2 shown]
	v_fma_f64 v[208:209], v[94:95], s[44:45], -v[132:133]
	v_fma_f64 v[210:211], v[102:103], s[44:45], v[134:135]
	v_add_f64 v[4:5], v[204:205], v[4:5]
	v_add_f64 v[10:11], v[206:207], v[17:18]
	v_fma_f64 v[224:225], v[94:95], s[40:41], -v[148:149]
	v_fma_f64 v[226:227], v[102:103], s[40:41], v[150:151]
	v_add_f64 v[17:18], v[128:129], v[19:20]
	v_add_f64 v[19:20], v[130:131], v[21:22]
	;; [unrolled: 1-line block ×4, first 2 shown]
	v_fma_f64 v[132:133], v[94:95], s[44:45], v[132:133]
	v_fma_f64 v[134:135], v[102:103], s[44:45], -v[134:135]
	v_add_f64 v[25:26], v[144:145], v[35:36]
	v_add_f64 v[33:34], v[146:147], v[37:38]
	;; [unrolled: 1-line block ×4, first 2 shown]
	v_fma_f64 v[148:149], v[94:95], s[40:41], v[148:149]
	v_fma_f64 v[68:69], v[94:95], s[36:37], -v[180:181]
	v_fma_f64 v[31:32], v[102:103], s[36:37], v[182:183]
	v_add_f64 v[62:63], v[160:161], v[70:71]
	v_add_f64 v[70:71], v[248:249], v[13:14]
	;; [unrolled: 1-line block ×3, first 2 shown]
	v_fma_f64 v[150:151], v[102:103], s[40:41], -v[150:151]
	v_fma_f64 v[180:181], v[94:95], s[36:37], v[180:181]
	v_fma_f64 v[92:93], v[94:95], s[38:39], -v[86:87]
	v_fma_f64 v[86:87], v[94:95], s[38:39], v[86:87]
	v_fma_f64 v[94:95], v[102:103], s[38:39], v[88:89]
	v_add_f64 v[72:73], v[80:81], v[72:73]
	v_add_f64 v[78:79], v[90:91], v[8:9]
	v_fma_f64 v[88:89], v[102:103], s[38:39], -v[88:89]
	v_add_f64 v[80:81], v[82:83], v[27:28]
	v_add_f64 v[39:40], v[84:85], v[39:40]
	v_fma_f64 v[182:183], v[102:103], s[36:37], -v[182:183]
	v_add_f64 v[76:77], v[176:177], v[98:99]
	v_add_f64 v[66:67], v[178:179], v[66:67]
	;; [unrolled: 1-line block ×27, first 2 shown]
	v_lshlrev_b64 v[102:103], 4, v[44:45]
	v_add_nc_u32_e32 v44, s9, v44
	ds_write_b128 v55, v[0:3] offset:1936
	ds_write_b128 v55, v[8:11] offset:3872
	;; [unrolled: 1-line block ×10, first 2 shown]
	ds_write_b128 v55, v[56:59]
	s_waitcnt lgkmcnt(0)
	s_barrier
	buffer_gl0_inv
	ds_read_b128 v[0:3], v54
	ds_read_b128 v[4:7], v54 offset:1936
	ds_read_b128 v[8:11], v54 offset:3872
	;; [unrolled: 1-line block ×10, first 2 shown]
	v_lshlrev_b64 v[254:255], 4, v[44:45]
	v_add_nc_u32_e32 v44, s9, v44
	v_add_co_u32 v62, s0, s1, v102
	v_add_co_ci_u32_e64 v63, s0, s8, v103, s0
	v_lshlrev_b64 v[64:65], 4, v[44:45]
	v_add_nc_u32_e32 v44, s9, v44
	v_add_co_u32 v66, s0, s1, v254
	v_add_co_ci_u32_e64 v67, s0, s8, v255, s0
	v_lshlrev_b64 v[43:44], 4, v[44:45]
	v_add_co_u32 v58, s0, s1, v64
	v_add_co_ci_u32_e64 v59, s0, s8, v65, s0
	v_add_co_u32 v43, s0, s1, v43
	v_add_co_ci_u32_e64 v44, s0, s8, v44, s0
	s_waitcnt lgkmcnt(10)
	global_store_dwordx4 v[41:42], v[0:3], off
	s_waitcnt lgkmcnt(9)
	global_store_dwordx4 v[46:47], v[4:7], off
	;; [unrolled: 2-line block ×11, first 2 shown]
	s_and_saveexec_b32 s0, vcc_lo
	s_cbranch_execz .LBB0_2
; %bb.1:
	ds_read_b128 v[0:3], v45 offset:21296
	s_mul_i32 s12, s28, 0x533
	s_lshl_b64 s[2:3], s[12:13], 4
	s_add_u32 s0, s1, s2
	s_addc_u32 s1, s8, s3
	s_waitcnt lgkmcnt(0)
	global_store_dwordx4 v45, v[0:3], s[0:1]
.LBB0_2:
	s_endpgm
	.section	.rodata,"a",@progbits
	.p2align	6, 0x0
	.amdhsa_kernel fft_rtc_fwd_len1331_factors_11_11_11_wgs_121_tpt_121_dp_op_CI_CI_sbrc_erc_z_xy_unaligned
		.amdhsa_group_segment_fixed_size 0
		.amdhsa_private_segment_fixed_size 0
		.amdhsa_kernarg_size 104
		.amdhsa_user_sgpr_count 6
		.amdhsa_user_sgpr_private_segment_buffer 1
		.amdhsa_user_sgpr_dispatch_ptr 0
		.amdhsa_user_sgpr_queue_ptr 0
		.amdhsa_user_sgpr_kernarg_segment_ptr 1
		.amdhsa_user_sgpr_dispatch_id 0
		.amdhsa_user_sgpr_flat_scratch_init 0
		.amdhsa_user_sgpr_private_segment_size 0
		.amdhsa_wavefront_size32 1
		.amdhsa_uses_dynamic_stack 0
		.amdhsa_system_sgpr_private_segment_wavefront_offset 0
		.amdhsa_system_sgpr_workgroup_id_x 1
		.amdhsa_system_sgpr_workgroup_id_y 0
		.amdhsa_system_sgpr_workgroup_id_z 0
		.amdhsa_system_sgpr_workgroup_info 0
		.amdhsa_system_vgpr_workitem_id 0
		.amdhsa_next_free_vgpr 256
		.amdhsa_next_free_sgpr 48
		.amdhsa_reserve_vcc 1
		.amdhsa_reserve_flat_scratch 0
		.amdhsa_float_round_mode_32 0
		.amdhsa_float_round_mode_16_64 0
		.amdhsa_float_denorm_mode_32 3
		.amdhsa_float_denorm_mode_16_64 3
		.amdhsa_dx10_clamp 1
		.amdhsa_ieee_mode 1
		.amdhsa_fp16_overflow 0
		.amdhsa_workgroup_processor_mode 1
		.amdhsa_memory_ordered 1
		.amdhsa_forward_progress 0
		.amdhsa_shared_vgpr_count 0
		.amdhsa_exception_fp_ieee_invalid_op 0
		.amdhsa_exception_fp_denorm_src 0
		.amdhsa_exception_fp_ieee_div_zero 0
		.amdhsa_exception_fp_ieee_overflow 0
		.amdhsa_exception_fp_ieee_underflow 0
		.amdhsa_exception_fp_ieee_inexact 0
		.amdhsa_exception_int_div_zero 0
	.end_amdhsa_kernel
	.text
.Lfunc_end0:
	.size	fft_rtc_fwd_len1331_factors_11_11_11_wgs_121_tpt_121_dp_op_CI_CI_sbrc_erc_z_xy_unaligned, .Lfunc_end0-fft_rtc_fwd_len1331_factors_11_11_11_wgs_121_tpt_121_dp_op_CI_CI_sbrc_erc_z_xy_unaligned
                                        ; -- End function
	.section	.AMDGPU.csdata,"",@progbits
; Kernel info:
; codeLenInByte = 11380
; NumSgprs: 50
; NumVgprs: 256
; ScratchSize: 0
; MemoryBound: 0
; FloatMode: 240
; IeeeMode: 1
; LDSByteSize: 0 bytes/workgroup (compile time only)
; SGPRBlocks: 6
; VGPRBlocks: 31
; NumSGPRsForWavesPerEU: 50
; NumVGPRsForWavesPerEU: 256
; Occupancy: 4
; WaveLimiterHint : 1
; COMPUTE_PGM_RSRC2:SCRATCH_EN: 0
; COMPUTE_PGM_RSRC2:USER_SGPR: 6
; COMPUTE_PGM_RSRC2:TRAP_HANDLER: 0
; COMPUTE_PGM_RSRC2:TGID_X_EN: 1
; COMPUTE_PGM_RSRC2:TGID_Y_EN: 0
; COMPUTE_PGM_RSRC2:TGID_Z_EN: 0
; COMPUTE_PGM_RSRC2:TIDIG_COMP_CNT: 0
	.text
	.p2alignl 6, 3214868480
	.fill 48, 4, 3214868480
	.type	__hip_cuid_6b7436d552fbf2a1,@object ; @__hip_cuid_6b7436d552fbf2a1
	.section	.bss,"aw",@nobits
	.globl	__hip_cuid_6b7436d552fbf2a1
__hip_cuid_6b7436d552fbf2a1:
	.byte	0                               ; 0x0
	.size	__hip_cuid_6b7436d552fbf2a1, 1

	.ident	"AMD clang version 19.0.0git (https://github.com/RadeonOpenCompute/llvm-project roc-6.4.0 25133 c7fe45cf4b819c5991fe208aaa96edf142730f1d)"
	.section	".note.GNU-stack","",@progbits
	.addrsig
	.addrsig_sym __hip_cuid_6b7436d552fbf2a1
	.amdgpu_metadata
---
amdhsa.kernels:
  - .args:
      - .actual_access:  read_only
        .address_space:  global
        .offset:         0
        .size:           8
        .value_kind:     global_buffer
      - .offset:         8
        .size:           8
        .value_kind:     by_value
      - .actual_access:  read_only
        .address_space:  global
        .offset:         16
        .size:           8
        .value_kind:     global_buffer
      - .actual_access:  read_only
        .address_space:  global
        .offset:         24
        .size:           8
        .value_kind:     global_buffer
      - .actual_access:  read_only
        .address_space:  global
        .offset:         32
        .size:           8
        .value_kind:     global_buffer
      - .offset:         40
        .size:           8
        .value_kind:     by_value
      - .actual_access:  read_only
        .address_space:  global
        .offset:         48
        .size:           8
        .value_kind:     global_buffer
      - .actual_access:  read_only
        .address_space:  global
        .offset:         56
        .size:           8
        .value_kind:     global_buffer
      - .offset:         64
        .size:           4
        .value_kind:     by_value
      - .actual_access:  read_only
        .address_space:  global
        .offset:         72
        .size:           8
        .value_kind:     global_buffer
      - .actual_access:  read_only
        .address_space:  global
        .offset:         80
        .size:           8
        .value_kind:     global_buffer
      - .actual_access:  read_only
        .address_space:  global
        .offset:         88
        .size:           8
        .value_kind:     global_buffer
      - .actual_access:  write_only
        .address_space:  global
        .offset:         96
        .size:           8
        .value_kind:     global_buffer
    .group_segment_fixed_size: 0
    .kernarg_segment_align: 8
    .kernarg_segment_size: 104
    .language:       OpenCL C
    .language_version:
      - 2
      - 0
    .max_flat_workgroup_size: 121
    .name:           fft_rtc_fwd_len1331_factors_11_11_11_wgs_121_tpt_121_dp_op_CI_CI_sbrc_erc_z_xy_unaligned
    .private_segment_fixed_size: 0
    .sgpr_count:     50
    .sgpr_spill_count: 0
    .symbol:         fft_rtc_fwd_len1331_factors_11_11_11_wgs_121_tpt_121_dp_op_CI_CI_sbrc_erc_z_xy_unaligned.kd
    .uniform_work_group_size: 1
    .uses_dynamic_stack: false
    .vgpr_count:     256
    .vgpr_spill_count: 0
    .wavefront_size: 32
    .workgroup_processor_mode: 1
amdhsa.target:   amdgcn-amd-amdhsa--gfx1030
amdhsa.version:
  - 1
  - 2
...

	.end_amdgpu_metadata
